;; amdgpu-corpus repo=ROCm/rocFFT kind=compiled arch=gfx906 opt=O3
	.text
	.amdgcn_target "amdgcn-amd-amdhsa--gfx906"
	.amdhsa_code_object_version 6
	.protected	bluestein_fft_mul_sp_CI_CI ; -- Begin function bluestein_fft_mul_sp_CI_CI
	.globl	bluestein_fft_mul_sp_CI_CI
	.p2align	8
	.type	bluestein_fft_mul_sp_CI_CI,@function
bluestein_fft_mul_sp_CI_CI:             ; @bluestein_fft_mul_sp_CI_CI
; %bb.0:
	s_load_dword s0, s[4:5], 0x8c
	s_load_dwordx4 s[8:11], s[4:5], 0x0
	v_mov_b32_e32 v1, 0
	s_waitcnt lgkmcnt(0)
	s_and_b32 s0, s0, 0xffff
	s_mul_i32 s6, s6, s0
	v_add_u32_e32 v0, s6, v0
	v_cmp_gt_u64_e32 vcc, s[10:11], v[0:1]
	s_and_saveexec_b64 s[0:1], vcc
	s_cbranch_execz .LBB0_13
; %bb.1:
	s_load_dwordx2 s[2:3], s[4:5], 0x48
	v_mov_b32_e32 v2, 0
	v_mov_b32_e32 v3, 0
	v_cmp_le_u64_e32 vcc, s[8:9], v[0:1]
	v_mov_b32_e32 v5, v3
	v_mov_b32_e32 v4, v2
	s_and_saveexec_b64 s[0:1], vcc
	s_cbranch_execz .LBB0_3
; %bb.2:
	v_cvt_f32_u32_e32 v1, s8
	s_sub_i32 s6, 0, s8
	v_rcp_iflag_f32_e32 v1, v1
	v_mul_f32_e32 v1, 0x4f7ffffe, v1
	v_cvt_u32_f32_e32 v1, v1
	v_mul_lo_u32 v4, s6, v1
	v_mul_hi_u32 v4, v1, v4
	v_add_u32_e32 v1, v1, v4
	v_mul_hi_u32 v1, v0, v1
	v_mul_lo_u32 v4, v1, s8
	v_add_u32_e32 v5, 1, v1
	v_sub_u32_e32 v4, v0, v4
	v_subrev_u32_e32 v6, s8, v4
	v_cmp_le_u32_e32 vcc, s8, v4
	v_cndmask_b32_e32 v4, v4, v6, vcc
	v_cndmask_b32_e32 v1, v1, v5, vcc
	v_add_u32_e32 v5, 1, v1
	v_cmp_le_u32_e32 vcc, s8, v4
	v_cndmask_b32_e32 v4, v1, v5, vcc
	v_mov_b32_e32 v5, 0
.LBB0_3:
	s_or_b64 exec, exec, s[0:1]
	s_load_dwordx2 s[10:11], s[4:5], 0x30
	s_load_dwordx4 s[12:15], s[4:5], 0x20
	s_load_dwordx2 s[6:7], s[4:5], 0x40
	v_mov_b32_e32 v7, v5
	v_mov_b32_e32 v6, v4
	s_waitcnt lgkmcnt(0)
	v_cmp_lt_u64_e64 s[0:1], s[10:11], 2
	s_and_b64 vcc, exec, s[0:1]
	s_cbranch_vccnz .LBB0_12
; %bb.4:
	s_load_dwordx2 s[0:1], s[4:5], 0x38
	v_mov_b32_e32 v2, 0
	v_mov_b32_e32 v7, v5
	v_mov_b32_e32 v3, 0
	v_mov_b32_e32 v8, 0
	s_waitcnt lgkmcnt(0)
	s_add_u32 s4, s0, 8
	s_addc_u32 s5, s1, 0
	v_mov_b32_e32 v6, v4
	s_branch .LBB0_6
.LBB0_5:                                ;   in Loop: Header=BB0_6 Depth=1
	s_or_b64 exec, exec, s[0:1]
	s_lshl_b64 s[0:1], s[10:11], 3
	s_add_u32 s0, s2, s0
	s_addc_u32 s1, s3, s1
	s_load_dwordx2 s[0:1], s[0:1], 0x0
	v_mul_lo_u32 v1, v10, s16
	v_mul_lo_u32 v12, v9, s17
	s_add_u32 s10, s10, -1
	s_addc_u32 s11, s11, -1
	s_waitcnt lgkmcnt(0)
	v_mul_lo_u32 v5, s0, v10
	v_mul_lo_u32 v11, s1, v9
	v_mad_u64_u32 v[2:3], s[0:1], s0, v9, v[2:3]
	v_mad_u64_u32 v[9:10], s[0:1], v9, s16, 0
	v_cmp_lt_u64_e64 s[0:1], s[10:11], 2
	v_add3_u32 v3, v11, v3, v5
	v_add3_u32 v1, v10, v12, v1
	v_sub_co_u32_e32 v6, vcc, v6, v9
	v_subb_co_u32_e32 v7, vcc, v7, v1, vcc
	s_and_b64 vcc, exec, s[0:1]
	s_cbranch_vccnz .LBB0_12
.LBB0_6:                                ; =>This Loop Header: Depth=1
                                        ;     Child Loop BB0_7 Depth 2
	v_mov_b32_e32 v9, s10
	v_mov_b32_e32 v10, s11
	s_mov_b64 s[0:1], s[4:5]
	s_mov_b64 s[18:19], 1
	;; [unrolled: 1-line block ×3, first 2 shown]
.LBB0_7:                                ;   Parent Loop BB0_6 Depth=1
                                        ; =>  This Inner Loop Header: Depth=2
	s_load_dwordx2 s[20:21], s[0:1], 0x0
	s_waitcnt lgkmcnt(0)
	s_mul_i32 s17, s20, s17
	s_mul_hi_u32 s22, s20, s16
	s_mul_i32 s21, s21, s16
	s_add_i32 s17, s22, s17
	s_add_i32 s17, s17, s21
	s_add_u32 s18, s18, 1
	s_addc_u32 s19, s19, 0
	v_cmp_ge_u64_e32 vcc, s[18:19], v[9:10]
	s_add_u32 s0, s0, 8
	s_mul_i32 s16, s20, s16
	s_addc_u32 s1, s1, 0
	s_cbranch_vccz .LBB0_7
; %bb.8:                                ;   in Loop: Header=BB0_6 Depth=1
	v_or_b32_e32 v9, s17, v7
	v_cmp_ne_u64_e32 vcc, 0, v[8:9]
                                        ; implicit-def: $vgpr9_vgpr10
	s_and_saveexec_b64 s[0:1], vcc
	s_xor_b64 s[18:19], exec, s[0:1]
	s_cbranch_execz .LBB0_10
; %bb.9:                                ;   in Loop: Header=BB0_6 Depth=1
	v_cvt_f32_u32_e32 v1, s16
	v_cvt_f32_u32_e32 v5, s17
	s_sub_u32 s0, 0, s16
	s_subb_u32 s1, 0, s17
	v_mac_f32_e32 v1, 0x4f800000, v5
	v_rcp_f32_e32 v1, v1
	v_mul_f32_e32 v1, 0x5f7ffffc, v1
	v_mul_f32_e32 v5, 0x2f800000, v1
	v_trunc_f32_e32 v5, v5
	v_mac_f32_e32 v1, 0xcf800000, v5
	v_cvt_u32_f32_e32 v5, v5
	v_cvt_u32_f32_e32 v1, v1
	v_mul_lo_u32 v9, s0, v5
	v_mul_hi_u32 v10, s0, v1
	v_mul_lo_u32 v12, s1, v1
	v_mul_lo_u32 v11, s0, v1
	v_add_u32_e32 v9, v10, v9
	v_add_u32_e32 v9, v9, v12
	v_mul_hi_u32 v10, v1, v11
	v_mul_lo_u32 v12, v1, v9
	v_mul_hi_u32 v14, v1, v9
	v_mul_hi_u32 v13, v5, v11
	v_mul_lo_u32 v11, v5, v11
	v_mul_hi_u32 v15, v5, v9
	v_add_co_u32_e32 v10, vcc, v10, v12
	v_addc_co_u32_e32 v12, vcc, 0, v14, vcc
	v_mul_lo_u32 v9, v5, v9
	v_add_co_u32_e32 v10, vcc, v10, v11
	v_addc_co_u32_e32 v10, vcc, v12, v13, vcc
	v_addc_co_u32_e32 v11, vcc, 0, v15, vcc
	v_add_co_u32_e32 v9, vcc, v10, v9
	v_addc_co_u32_e32 v10, vcc, 0, v11, vcc
	v_add_co_u32_e32 v1, vcc, v1, v9
	v_addc_co_u32_e32 v5, vcc, v5, v10, vcc
	v_mul_lo_u32 v9, s0, v5
	v_mul_hi_u32 v10, s0, v1
	v_mul_lo_u32 v11, s1, v1
	v_mul_lo_u32 v12, s0, v1
	v_add_u32_e32 v9, v10, v9
	v_add_u32_e32 v9, v9, v11
	v_mul_lo_u32 v13, v1, v9
	v_mul_hi_u32 v14, v1, v12
	v_mul_hi_u32 v15, v1, v9
	;; [unrolled: 1-line block ×3, first 2 shown]
	v_mul_lo_u32 v12, v5, v12
	v_mul_hi_u32 v10, v5, v9
	v_add_co_u32_e32 v13, vcc, v14, v13
	v_addc_co_u32_e32 v14, vcc, 0, v15, vcc
	v_mul_lo_u32 v9, v5, v9
	v_add_co_u32_e32 v12, vcc, v13, v12
	v_addc_co_u32_e32 v11, vcc, v14, v11, vcc
	v_addc_co_u32_e32 v10, vcc, 0, v10, vcc
	v_add_co_u32_e32 v9, vcc, v11, v9
	v_addc_co_u32_e32 v10, vcc, 0, v10, vcc
	v_add_co_u32_e32 v1, vcc, v1, v9
	v_addc_co_u32_e32 v5, vcc, v5, v10, vcc
	v_mad_u64_u32 v[9:10], s[0:1], v6, v5, 0
	v_mul_hi_u32 v11, v6, v1
	v_add_co_u32_e32 v13, vcc, v11, v9
	v_addc_co_u32_e32 v14, vcc, 0, v10, vcc
	v_mad_u64_u32 v[9:10], s[0:1], v7, v1, 0
	v_mad_u64_u32 v[11:12], s[0:1], v7, v5, 0
	v_add_co_u32_e32 v1, vcc, v13, v9
	v_addc_co_u32_e32 v1, vcc, v14, v10, vcc
	v_addc_co_u32_e32 v5, vcc, 0, v12, vcc
	v_add_co_u32_e32 v1, vcc, v1, v11
	v_addc_co_u32_e32 v5, vcc, 0, v5, vcc
	v_mul_lo_u32 v11, s17, v1
	v_mul_lo_u32 v12, s16, v5
	v_mad_u64_u32 v[9:10], s[0:1], s16, v1, 0
	v_add3_u32 v10, v10, v12, v11
	v_sub_u32_e32 v11, v7, v10
	v_mov_b32_e32 v12, s17
	v_sub_co_u32_e32 v9, vcc, v6, v9
	v_subb_co_u32_e64 v11, s[0:1], v11, v12, vcc
	v_subrev_co_u32_e64 v12, s[0:1], s16, v9
	v_subbrev_co_u32_e64 v11, s[0:1], 0, v11, s[0:1]
	v_cmp_le_u32_e64 s[0:1], s17, v11
	v_cndmask_b32_e64 v13, 0, -1, s[0:1]
	v_cmp_le_u32_e64 s[0:1], s16, v12
	v_cndmask_b32_e64 v12, 0, -1, s[0:1]
	v_cmp_eq_u32_e64 s[0:1], s17, v11
	v_cndmask_b32_e64 v11, v13, v12, s[0:1]
	v_add_co_u32_e64 v12, s[0:1], 2, v1
	v_addc_co_u32_e64 v13, s[0:1], 0, v5, s[0:1]
	v_add_co_u32_e64 v14, s[0:1], 1, v1
	v_addc_co_u32_e64 v15, s[0:1], 0, v5, s[0:1]
	v_subb_co_u32_e32 v10, vcc, v7, v10, vcc
	v_cmp_ne_u32_e64 s[0:1], 0, v11
	v_cmp_le_u32_e32 vcc, s17, v10
	v_cndmask_b32_e64 v11, v15, v13, s[0:1]
	v_cndmask_b32_e64 v13, 0, -1, vcc
	v_cmp_le_u32_e32 vcc, s16, v9
	v_cndmask_b32_e64 v9, 0, -1, vcc
	v_cmp_eq_u32_e32 vcc, s17, v10
	v_cndmask_b32_e32 v9, v13, v9, vcc
	v_cmp_ne_u32_e32 vcc, 0, v9
	v_cndmask_b32_e32 v10, v5, v11, vcc
	v_cndmask_b32_e64 v5, v14, v12, s[0:1]
	v_cndmask_b32_e32 v9, v1, v5, vcc
.LBB0_10:                               ;   in Loop: Header=BB0_6 Depth=1
	s_andn2_saveexec_b64 s[0:1], s[18:19]
	s_cbranch_execz .LBB0_5
; %bb.11:                               ;   in Loop: Header=BB0_6 Depth=1
	v_cvt_f32_u32_e32 v1, s16
	s_sub_i32 s18, 0, s16
	v_rcp_iflag_f32_e32 v1, v1
	v_mul_f32_e32 v1, 0x4f7ffffe, v1
	v_cvt_u32_f32_e32 v1, v1
	v_mul_lo_u32 v5, s18, v1
	v_mul_hi_u32 v5, v1, v5
	v_add_u32_e32 v1, v1, v5
	v_mul_hi_u32 v1, v6, v1
	v_mul_lo_u32 v5, v1, s16
	v_add_u32_e32 v9, 1, v1
	v_sub_u32_e32 v5, v6, v5
	v_subrev_u32_e32 v10, s16, v5
	v_cmp_le_u32_e32 vcc, s16, v5
	v_cndmask_b32_e32 v5, v5, v10, vcc
	v_cndmask_b32_e32 v1, v1, v9, vcc
	v_add_u32_e32 v9, 1, v1
	v_cmp_le_u32_e32 vcc, s16, v5
	v_cndmask_b32_e32 v9, v1, v9, vcc
	v_mov_b32_e32 v10, v8
	s_branch .LBB0_5
.LBB0_12:
	v_mad_u64_u32 v[8:9], s[4:5], v4, s8, 0
	s_load_dwordx4 s[0:3], s[2:3], 0x0
	v_mov_b32_e32 v1, v9
	v_mad_u64_u32 v[4:5], s[4:5], v4, s9, v[1:2]
	s_waitcnt lgkmcnt(0)
	v_mul_lo_u32 v9, s3, v6
	v_mul_lo_u32 v10, s2, v7
	v_mad_u64_u32 v[5:6], s[2:3], s2, v6, 0
	s_load_dwordx2 s[2:3], s[6:7], 0x0
	v_mov_b32_e32 v1, v4
	v_sub_co_u32_e32 v4, vcc, v0, v8
	v_subb_co_u32_e32 v7, vcc, 0, v1, vcc
	v_lshlrev_b64 v[2:3], 3, v[2:3]
	s_waitcnt lgkmcnt(0)
	v_mul_lo_u32 v12, s2, v7
	v_mul_lo_u32 v13, s1, v4
	;; [unrolled: 1-line block ×3, first 2 shown]
	v_mad_u64_u32 v[7:8], s[0:1], s0, v4, 0
	v_mul_lo_u32 v11, s3, v4
	v_mad_u64_u32 v[0:1], s[2:3], s2, v4, 0
	v_add3_u32 v6, v6, v10, v9
	v_mov_b32_e32 v4, s15
	v_add_co_u32_e32 v9, vcc, s14, v2
	v_addc_co_u32_e32 v4, vcc, v4, v3, vcc
	v_lshlrev_b64 v[2:3], 3, v[5:6]
	v_add3_u32 v8, v8, v14, v13
	v_add_co_u32_e32 v5, vcc, v9, v2
	v_addc_co_u32_e32 v4, vcc, v4, v3, vcc
	v_lshlrev_b64 v[2:3], 3, v[7:8]
	v_add3_u32 v1, v1, v12, v11
	v_add_co_u32_e32 v2, vcc, v5, v2
	v_lshlrev_b64 v[0:1], 3, v[0:1]
	v_addc_co_u32_e32 v3, vcc, v4, v3, vcc
	v_mov_b32_e32 v6, s13
	v_add_co_u32_e32 v0, vcc, s12, v0
	v_addc_co_u32_e32 v1, vcc, v6, v1, vcc
	global_load_dwordx2 v[4:5], v[2:3], off
	s_nop 0
	global_load_dwordx2 v[0:1], v[0:1], off
	s_waitcnt vmcnt(0)
	v_mul_f32_e32 v6, v5, v1
	v_mul_f32_e32 v7, v4, v1
	v_fma_f32 v6, v4, v0, -v6
	v_fmac_f32_e32 v7, v5, v0
	global_store_dwordx2 v[2:3], v[6:7], off
.LBB0_13:
	s_endpgm
	.section	.rodata,"a",@progbits
	.p2align	6, 0x0
	.amdhsa_kernel bluestein_fft_mul_sp_CI_CI
		.amdhsa_group_segment_fixed_size 0
		.amdhsa_private_segment_fixed_size 0
		.amdhsa_kernarg_size 384
		.amdhsa_user_sgpr_count 6
		.amdhsa_user_sgpr_private_segment_buffer 1
		.amdhsa_user_sgpr_dispatch_ptr 0
		.amdhsa_user_sgpr_queue_ptr 0
		.amdhsa_user_sgpr_kernarg_segment_ptr 1
		.amdhsa_user_sgpr_dispatch_id 0
		.amdhsa_user_sgpr_flat_scratch_init 0
		.amdhsa_user_sgpr_private_segment_size 0
		.amdhsa_uses_dynamic_stack 0
		.amdhsa_system_sgpr_private_segment_wavefront_offset 0
		.amdhsa_system_sgpr_workgroup_id_x 1
		.amdhsa_system_sgpr_workgroup_id_y 0
		.amdhsa_system_sgpr_workgroup_id_z 0
		.amdhsa_system_sgpr_workgroup_info 0
		.amdhsa_system_vgpr_workitem_id 0
		.amdhsa_next_free_vgpr 16
		.amdhsa_next_free_sgpr 23
		.amdhsa_reserve_vcc 1
		.amdhsa_reserve_flat_scratch 0
		.amdhsa_float_round_mode_32 0
		.amdhsa_float_round_mode_16_64 0
		.amdhsa_float_denorm_mode_32 3
		.amdhsa_float_denorm_mode_16_64 3
		.amdhsa_dx10_clamp 1
		.amdhsa_ieee_mode 1
		.amdhsa_fp16_overflow 0
		.amdhsa_exception_fp_ieee_invalid_op 0
		.amdhsa_exception_fp_denorm_src 0
		.amdhsa_exception_fp_ieee_div_zero 0
		.amdhsa_exception_fp_ieee_overflow 0
		.amdhsa_exception_fp_ieee_underflow 0
		.amdhsa_exception_fp_ieee_inexact 0
		.amdhsa_exception_int_div_zero 0
	.end_amdhsa_kernel
	.text
.Lfunc_end0:
	.size	bluestein_fft_mul_sp_CI_CI, .Lfunc_end0-bluestein_fft_mul_sp_CI_CI
                                        ; -- End function
	.section	.AMDGPU.csdata,"",@progbits
; Kernel info:
; codeLenInByte = 1512
; NumSgprs: 27
; NumVgprs: 16
; ScratchSize: 0
; MemoryBound: 0
; FloatMode: 240
; IeeeMode: 1
; LDSByteSize: 0 bytes/workgroup (compile time only)
; SGPRBlocks: 3
; VGPRBlocks: 3
; NumSGPRsForWavesPerEU: 27
; NumVGPRsForWavesPerEU: 16
; Occupancy: 10
; WaveLimiterHint : 1
; COMPUTE_PGM_RSRC2:SCRATCH_EN: 0
; COMPUTE_PGM_RSRC2:USER_SGPR: 6
; COMPUTE_PGM_RSRC2:TRAP_HANDLER: 0
; COMPUTE_PGM_RSRC2:TGID_X_EN: 1
; COMPUTE_PGM_RSRC2:TGID_Y_EN: 0
; COMPUTE_PGM_RSRC2:TGID_Z_EN: 0
; COMPUTE_PGM_RSRC2:TIDIG_COMP_CNT: 0
	.type	__hip_cuid_91ef391ce79a56ed,@object ; @__hip_cuid_91ef391ce79a56ed
	.section	.bss,"aw",@nobits
	.globl	__hip_cuid_91ef391ce79a56ed
__hip_cuid_91ef391ce79a56ed:
	.byte	0                               ; 0x0
	.size	__hip_cuid_91ef391ce79a56ed, 1

	.ident	"AMD clang version 19.0.0git (https://github.com/RadeonOpenCompute/llvm-project roc-6.4.0 25133 c7fe45cf4b819c5991fe208aaa96edf142730f1d)"
	.section	".note.GNU-stack","",@progbits
	.addrsig
	.addrsig_sym __hip_cuid_91ef391ce79a56ed
	.amdgpu_metadata
---
amdhsa.kernels:
  - .args:
      - .offset:         0
        .size:           8
        .value_kind:     by_value
      - .offset:         8
        .size:           8
        .value_kind:     by_value
      - .offset:         16
        .size:           8
        .value_kind:     by_value
      - .offset:         24
        .size:           8
        .value_kind:     by_value
      - .actual_access:  read_only
        .address_space:  global
        .offset:         32
        .size:           8
        .value_kind:     global_buffer
      - .address_space:  global
        .offset:         40
        .size:           8
        .value_kind:     global_buffer
      - .offset:         48
        .size:           8
        .value_kind:     by_value
      - .actual_access:  read_only
        .address_space:  global
        .offset:         56
        .size:           8
        .value_kind:     global_buffer
      - .actual_access:  read_only
        .address_space:  global
        .offset:         64
        .size:           8
        .value_kind:     global_buffer
      - .actual_access:  read_only
        .address_space:  global
        .offset:         72
        .size:           8
        .value_kind:     global_buffer
      - .actual_access:  read_only
        .address_space:  global
        .offset:         80
        .size:           8
        .value_kind:     global_buffer
      - .actual_access:  read_only
        .address_space:  global
        .offset:         88
        .size:           8
        .value_kind:     global_buffer
      - .offset:         96
        .size:           4
        .value_kind:     by_value
      - .actual_access:  read_only
        .address_space:  global
        .offset:         104
        .size:           8
        .value_kind:     global_buffer
      - .actual_access:  read_only
        .address_space:  global
        .offset:         112
        .size:           8
        .value_kind:     global_buffer
      - .offset:         120
        .size:           4
        .value_kind:     by_value
      - .offset:         128
        .size:           4
        .value_kind:     hidden_block_count_x
      - .offset:         132
        .size:           4
        .value_kind:     hidden_block_count_y
      - .offset:         136
        .size:           4
        .value_kind:     hidden_block_count_z
      - .offset:         140
        .size:           2
        .value_kind:     hidden_group_size_x
      - .offset:         142
        .size:           2
        .value_kind:     hidden_group_size_y
      - .offset:         144
        .size:           2
        .value_kind:     hidden_group_size_z
      - .offset:         146
        .size:           2
        .value_kind:     hidden_remainder_x
      - .offset:         148
        .size:           2
        .value_kind:     hidden_remainder_y
      - .offset:         150
        .size:           2
        .value_kind:     hidden_remainder_z
      - .offset:         168
        .size:           8
        .value_kind:     hidden_global_offset_x
      - .offset:         176
        .size:           8
        .value_kind:     hidden_global_offset_y
      - .offset:         184
        .size:           8
        .value_kind:     hidden_global_offset_z
      - .offset:         192
        .size:           2
        .value_kind:     hidden_grid_dims
    .group_segment_fixed_size: 0
    .kernarg_segment_align: 8
    .kernarg_segment_size: 384
    .language:       OpenCL C
    .language_version:
      - 2
      - 0
    .max_flat_workgroup_size: 64
    .name:           bluestein_fft_mul_sp_CI_CI
    .private_segment_fixed_size: 0
    .sgpr_count:     27
    .sgpr_spill_count: 0
    .symbol:         bluestein_fft_mul_sp_CI_CI.kd
    .uniform_work_group_size: 1
    .uses_dynamic_stack: false
    .vgpr_count:     16
    .vgpr_spill_count: 0
    .wavefront_size: 64
amdhsa.target:   amdgcn-amd-amdhsa--gfx906
amdhsa.version:
  - 1
  - 2
...

	.end_amdgpu_metadata
